;; amdgpu-corpus repo=ROCm/rocFFT kind=compiled arch=gfx1201 opt=O3
	.text
	.amdgcn_target "amdgcn-amd-amdhsa--gfx1201"
	.amdhsa_code_object_version 6
	.protected	fft_rtc_fwd_len630_factors_3_3_5_7_2_wgs_63_tpt_63_halfLds_dp_op_CI_CI_unitstride_sbrr_R2C_dirReg ; -- Begin function fft_rtc_fwd_len630_factors_3_3_5_7_2_wgs_63_tpt_63_halfLds_dp_op_CI_CI_unitstride_sbrr_R2C_dirReg
	.globl	fft_rtc_fwd_len630_factors_3_3_5_7_2_wgs_63_tpt_63_halfLds_dp_op_CI_CI_unitstride_sbrr_R2C_dirReg
	.p2align	8
	.type	fft_rtc_fwd_len630_factors_3_3_5_7_2_wgs_63_tpt_63_halfLds_dp_op_CI_CI_unitstride_sbrr_R2C_dirReg,@function
fft_rtc_fwd_len630_factors_3_3_5_7_2_wgs_63_tpt_63_halfLds_dp_op_CI_CI_unitstride_sbrr_R2C_dirReg: ; @fft_rtc_fwd_len630_factors_3_3_5_7_2_wgs_63_tpt_63_halfLds_dp_op_CI_CI_unitstride_sbrr_R2C_dirReg
; %bb.0:
	s_clause 0x2
	s_load_b128 s[8:11], s[0:1], 0x0
	s_load_b128 s[4:7], s[0:1], 0x58
	;; [unrolled: 1-line block ×3, first 2 shown]
	v_mul_u32_u24_e32 v1, 0x411, v0
	v_mov_b32_e32 v3, 0
	s_delay_alu instid0(VALU_DEP_2) | instskip(NEXT) | instid1(VALU_DEP_1)
	v_lshrrev_b32_e32 v1, 16, v1
	v_add_nc_u32_e32 v5, ttmp9, v1
	v_mov_b32_e32 v1, 0
	v_mov_b32_e32 v2, 0
	;; [unrolled: 1-line block ×3, first 2 shown]
	s_wait_kmcnt 0x0
	v_cmp_lt_u64_e64 s2, s[10:11], 2
	s_delay_alu instid0(VALU_DEP_1)
	s_and_b32 vcc_lo, exec_lo, s2
	s_cbranch_vccnz .LBB0_8
; %bb.1:
	s_load_b64 s[2:3], s[0:1], 0x10
	v_mov_b32_e32 v1, 0
	v_mov_b32_e32 v2, 0
	s_add_nc_u64 s[16:17], s[14:15], 8
	s_add_nc_u64 s[18:19], s[12:13], 8
	s_mov_b64 s[20:21], 1
	s_delay_alu instid0(VALU_DEP_1)
	v_dual_mov_b32 v57, v2 :: v_dual_mov_b32 v56, v1
	s_wait_kmcnt 0x0
	s_add_nc_u64 s[22:23], s[2:3], 8
	s_mov_b32 s3, 0
.LBB0_2:                                ; =>This Inner Loop Header: Depth=1
	s_load_b64 s[24:25], s[22:23], 0x0
                                        ; implicit-def: $vgpr60_vgpr61
	s_mov_b32 s2, exec_lo
	s_wait_kmcnt 0x0
	v_or_b32_e32 v4, s25, v6
	s_delay_alu instid0(VALU_DEP_1)
	v_cmpx_ne_u64_e32 0, v[3:4]
	s_wait_alu 0xfffe
	s_xor_b32 s26, exec_lo, s2
	s_cbranch_execz .LBB0_4
; %bb.3:                                ;   in Loop: Header=BB0_2 Depth=1
	s_cvt_f32_u32 s2, s24
	s_cvt_f32_u32 s27, s25
	s_sub_nc_u64 s[30:31], 0, s[24:25]
	s_wait_alu 0xfffe
	s_delay_alu instid0(SALU_CYCLE_1) | instskip(SKIP_1) | instid1(SALU_CYCLE_2)
	s_fmamk_f32 s2, s27, 0x4f800000, s2
	s_wait_alu 0xfffe
	v_s_rcp_f32 s2, s2
	s_delay_alu instid0(TRANS32_DEP_1) | instskip(SKIP_1) | instid1(SALU_CYCLE_2)
	s_mul_f32 s2, s2, 0x5f7ffffc
	s_wait_alu 0xfffe
	s_mul_f32 s27, s2, 0x2f800000
	s_wait_alu 0xfffe
	s_delay_alu instid0(SALU_CYCLE_2) | instskip(SKIP_1) | instid1(SALU_CYCLE_2)
	s_trunc_f32 s27, s27
	s_wait_alu 0xfffe
	s_fmamk_f32 s2, s27, 0xcf800000, s2
	s_cvt_u32_f32 s29, s27
	s_wait_alu 0xfffe
	s_delay_alu instid0(SALU_CYCLE_1) | instskip(SKIP_1) | instid1(SALU_CYCLE_2)
	s_cvt_u32_f32 s28, s2
	s_wait_alu 0xfffe
	s_mul_u64 s[34:35], s[30:31], s[28:29]
	s_wait_alu 0xfffe
	s_mul_hi_u32 s37, s28, s35
	s_mul_i32 s36, s28, s35
	s_mul_hi_u32 s2, s28, s34
	s_mul_i32 s33, s29, s34
	s_wait_alu 0xfffe
	s_add_nc_u64 s[36:37], s[2:3], s[36:37]
	s_mul_hi_u32 s27, s29, s34
	s_mul_hi_u32 s38, s29, s35
	s_add_co_u32 s2, s36, s33
	s_wait_alu 0xfffe
	s_add_co_ci_u32 s2, s37, s27
	s_mul_i32 s34, s29, s35
	s_add_co_ci_u32 s35, s38, 0
	s_wait_alu 0xfffe
	s_add_nc_u64 s[34:35], s[2:3], s[34:35]
	s_wait_alu 0xfffe
	v_add_co_u32 v4, s2, s28, s34
	s_delay_alu instid0(VALU_DEP_1) | instskip(SKIP_1) | instid1(VALU_DEP_1)
	s_cmp_lg_u32 s2, 0
	s_add_co_ci_u32 s29, s29, s35
	v_readfirstlane_b32 s28, v4
	s_wait_alu 0xfffe
	s_delay_alu instid0(VALU_DEP_1)
	s_mul_u64 s[30:31], s[30:31], s[28:29]
	s_wait_alu 0xfffe
	s_mul_hi_u32 s35, s28, s31
	s_mul_i32 s34, s28, s31
	s_mul_hi_u32 s2, s28, s30
	s_mul_i32 s33, s29, s30
	s_wait_alu 0xfffe
	s_add_nc_u64 s[34:35], s[2:3], s[34:35]
	s_mul_hi_u32 s27, s29, s30
	s_mul_hi_u32 s28, s29, s31
	s_wait_alu 0xfffe
	s_add_co_u32 s2, s34, s33
	s_add_co_ci_u32 s2, s35, s27
	s_mul_i32 s30, s29, s31
	s_add_co_ci_u32 s31, s28, 0
	s_wait_alu 0xfffe
	s_add_nc_u64 s[30:31], s[2:3], s[30:31]
	s_wait_alu 0xfffe
	v_add_co_u32 v4, s2, v4, s30
	s_delay_alu instid0(VALU_DEP_1) | instskip(SKIP_1) | instid1(VALU_DEP_1)
	s_cmp_lg_u32 s2, 0
	s_add_co_ci_u32 s2, s29, s31
	v_mul_hi_u32 v13, v5, v4
	s_wait_alu 0xfffe
	v_mad_co_u64_u32 v[7:8], null, v5, s2, 0
	v_mad_co_u64_u32 v[9:10], null, v6, v4, 0
	;; [unrolled: 1-line block ×3, first 2 shown]
	s_delay_alu instid0(VALU_DEP_3) | instskip(SKIP_1) | instid1(VALU_DEP_4)
	v_add_co_u32 v4, vcc_lo, v13, v7
	s_wait_alu 0xfffd
	v_add_co_ci_u32_e32 v7, vcc_lo, 0, v8, vcc_lo
	s_delay_alu instid0(VALU_DEP_2) | instskip(SKIP_1) | instid1(VALU_DEP_2)
	v_add_co_u32 v4, vcc_lo, v4, v9
	s_wait_alu 0xfffd
	v_add_co_ci_u32_e32 v4, vcc_lo, v7, v10, vcc_lo
	s_wait_alu 0xfffd
	v_add_co_ci_u32_e32 v7, vcc_lo, 0, v12, vcc_lo
	s_delay_alu instid0(VALU_DEP_2) | instskip(SKIP_1) | instid1(VALU_DEP_2)
	v_add_co_u32 v4, vcc_lo, v4, v11
	s_wait_alu 0xfffd
	v_add_co_ci_u32_e32 v9, vcc_lo, 0, v7, vcc_lo
	s_delay_alu instid0(VALU_DEP_2) | instskip(SKIP_1) | instid1(VALU_DEP_3)
	v_mul_lo_u32 v10, s25, v4
	v_mad_co_u64_u32 v[7:8], null, s24, v4, 0
	v_mul_lo_u32 v11, s24, v9
	s_delay_alu instid0(VALU_DEP_2) | instskip(NEXT) | instid1(VALU_DEP_2)
	v_sub_co_u32 v7, vcc_lo, v5, v7
	v_add3_u32 v8, v8, v11, v10
	s_delay_alu instid0(VALU_DEP_1) | instskip(SKIP_1) | instid1(VALU_DEP_1)
	v_sub_nc_u32_e32 v10, v6, v8
	s_wait_alu 0xfffd
	v_subrev_co_ci_u32_e64 v10, s2, s25, v10, vcc_lo
	v_add_co_u32 v11, s2, v4, 2
	s_wait_alu 0xf1ff
	v_add_co_ci_u32_e64 v12, s2, 0, v9, s2
	v_sub_co_u32 v13, s2, v7, s24
	v_sub_co_ci_u32_e32 v8, vcc_lo, v6, v8, vcc_lo
	s_wait_alu 0xf1ff
	v_subrev_co_ci_u32_e64 v10, s2, 0, v10, s2
	s_delay_alu instid0(VALU_DEP_3) | instskip(NEXT) | instid1(VALU_DEP_3)
	v_cmp_le_u32_e32 vcc_lo, s24, v13
	v_cmp_eq_u32_e64 s2, s25, v8
	s_wait_alu 0xfffd
	v_cndmask_b32_e64 v13, 0, -1, vcc_lo
	v_cmp_le_u32_e32 vcc_lo, s25, v10
	s_wait_alu 0xfffd
	v_cndmask_b32_e64 v14, 0, -1, vcc_lo
	v_cmp_le_u32_e32 vcc_lo, s24, v7
	;; [unrolled: 3-line block ×3, first 2 shown]
	s_wait_alu 0xfffd
	v_cndmask_b32_e64 v15, 0, -1, vcc_lo
	v_cmp_eq_u32_e32 vcc_lo, s25, v10
	s_wait_alu 0xf1ff
	s_delay_alu instid0(VALU_DEP_2)
	v_cndmask_b32_e64 v7, v15, v7, s2
	s_wait_alu 0xfffd
	v_cndmask_b32_e32 v10, v14, v13, vcc_lo
	v_add_co_u32 v13, vcc_lo, v4, 1
	s_wait_alu 0xfffd
	v_add_co_ci_u32_e32 v14, vcc_lo, 0, v9, vcc_lo
	s_delay_alu instid0(VALU_DEP_3) | instskip(SKIP_1) | instid1(VALU_DEP_2)
	v_cmp_ne_u32_e32 vcc_lo, 0, v10
	s_wait_alu 0xfffd
	v_cndmask_b32_e32 v8, v14, v12, vcc_lo
	v_cndmask_b32_e32 v10, v13, v11, vcc_lo
	v_cmp_ne_u32_e32 vcc_lo, 0, v7
	s_wait_alu 0xfffd
	s_delay_alu instid0(VALU_DEP_2)
	v_dual_cndmask_b32 v61, v9, v8 :: v_dual_cndmask_b32 v60, v4, v10
.LBB0_4:                                ;   in Loop: Header=BB0_2 Depth=1
	s_wait_alu 0xfffe
	s_and_not1_saveexec_b32 s2, s26
	s_cbranch_execz .LBB0_6
; %bb.5:                                ;   in Loop: Header=BB0_2 Depth=1
	v_cvt_f32_u32_e32 v4, s24
	s_sub_co_i32 s26, 0, s24
	v_mov_b32_e32 v61, v3
	s_delay_alu instid0(VALU_DEP_2) | instskip(NEXT) | instid1(TRANS32_DEP_1)
	v_rcp_iflag_f32_e32 v4, v4
	v_mul_f32_e32 v4, 0x4f7ffffe, v4
	s_delay_alu instid0(VALU_DEP_1) | instskip(SKIP_1) | instid1(VALU_DEP_1)
	v_cvt_u32_f32_e32 v4, v4
	s_wait_alu 0xfffe
	v_mul_lo_u32 v7, s26, v4
	s_delay_alu instid0(VALU_DEP_1) | instskip(NEXT) | instid1(VALU_DEP_1)
	v_mul_hi_u32 v7, v4, v7
	v_add_nc_u32_e32 v4, v4, v7
	s_delay_alu instid0(VALU_DEP_1) | instskip(NEXT) | instid1(VALU_DEP_1)
	v_mul_hi_u32 v4, v5, v4
	v_mul_lo_u32 v7, v4, s24
	v_add_nc_u32_e32 v8, 1, v4
	s_delay_alu instid0(VALU_DEP_2) | instskip(NEXT) | instid1(VALU_DEP_1)
	v_sub_nc_u32_e32 v7, v5, v7
	v_subrev_nc_u32_e32 v9, s24, v7
	v_cmp_le_u32_e32 vcc_lo, s24, v7
	s_wait_alu 0xfffd
	s_delay_alu instid0(VALU_DEP_2) | instskip(NEXT) | instid1(VALU_DEP_1)
	v_dual_cndmask_b32 v7, v7, v9 :: v_dual_cndmask_b32 v4, v4, v8
	v_cmp_le_u32_e32 vcc_lo, s24, v7
	s_delay_alu instid0(VALU_DEP_2) | instskip(SKIP_1) | instid1(VALU_DEP_1)
	v_add_nc_u32_e32 v8, 1, v4
	s_wait_alu 0xfffd
	v_cndmask_b32_e32 v60, v4, v8, vcc_lo
.LBB0_6:                                ;   in Loop: Header=BB0_2 Depth=1
	s_wait_alu 0xfffe
	s_or_b32 exec_lo, exec_lo, s2
	v_mul_lo_u32 v4, v61, s24
	s_delay_alu instid0(VALU_DEP_2)
	v_mul_lo_u32 v9, v60, s25
	s_load_b64 s[26:27], s[18:19], 0x0
	v_mad_co_u64_u32 v[7:8], null, v60, s24, 0
	s_load_b64 s[24:25], s[16:17], 0x0
	s_add_nc_u64 s[20:21], s[20:21], 1
	s_add_nc_u64 s[16:17], s[16:17], 8
	s_wait_alu 0xfffe
	v_cmp_ge_u64_e64 s2, s[20:21], s[10:11]
	s_add_nc_u64 s[18:19], s[18:19], 8
	s_add_nc_u64 s[22:23], s[22:23], 8
	v_add3_u32 v4, v8, v9, v4
	v_sub_co_u32 v5, vcc_lo, v5, v7
	s_wait_alu 0xfffd
	s_delay_alu instid0(VALU_DEP_2) | instskip(SKIP_2) | instid1(VALU_DEP_1)
	v_sub_co_ci_u32_e32 v4, vcc_lo, v6, v4, vcc_lo
	s_and_b32 vcc_lo, exec_lo, s2
	s_wait_kmcnt 0x0
	v_mul_lo_u32 v6, s26, v4
	v_mul_lo_u32 v7, s27, v5
	v_mad_co_u64_u32 v[1:2], null, s26, v5, v[1:2]
	v_mul_lo_u32 v4, s24, v4
	v_mul_lo_u32 v8, s25, v5
	v_mad_co_u64_u32 v[56:57], null, s24, v5, v[56:57]
	s_delay_alu instid0(VALU_DEP_4) | instskip(NEXT) | instid1(VALU_DEP_2)
	v_add3_u32 v2, v7, v2, v6
	v_add3_u32 v57, v8, v57, v4
	s_wait_alu 0xfffe
	s_cbranch_vccnz .LBB0_9
; %bb.7:                                ;   in Loop: Header=BB0_2 Depth=1
	v_dual_mov_b32 v5, v60 :: v_dual_mov_b32 v6, v61
	s_branch .LBB0_2
.LBB0_8:
	v_dual_mov_b32 v57, v2 :: v_dual_mov_b32 v56, v1
	v_dual_mov_b32 v61, v6 :: v_dual_mov_b32 v60, v5
.LBB0_9:
	s_load_b64 s[0:1], s[0:1], 0x28
	v_mul_hi_u32 v3, 0x4104105, v0
	s_lshl_b64 s[10:11], s[10:11], 3
                                        ; implicit-def: $vgpr58
                                        ; implicit-def: $vgpr66
                                        ; implicit-def: $vgpr64
                                        ; implicit-def: $vgpr62
	s_wait_kmcnt 0x0
	v_cmp_gt_u64_e32 vcc_lo, s[0:1], v[60:61]
	v_cmp_le_u64_e64 s0, s[0:1], v[60:61]
	s_delay_alu instid0(VALU_DEP_1)
	s_and_saveexec_b32 s1, s0
	s_wait_alu 0xfffe
	s_xor_b32 s0, exec_lo, s1
; %bb.10:
	v_mul_u32_u24_e32 v1, 63, v3
                                        ; implicit-def: $vgpr3
	s_delay_alu instid0(VALU_DEP_1) | instskip(NEXT) | instid1(VALU_DEP_1)
	v_sub_nc_u32_e32 v58, v0, v1
                                        ; implicit-def: $vgpr0
                                        ; implicit-def: $vgpr1_vgpr2
	v_add_nc_u32_e32 v66, 63, v58
	v_add_nc_u32_e32 v64, 0x7e, v58
	;; [unrolled: 1-line block ×3, first 2 shown]
; %bb.11:
	s_wait_alu 0xfffe
	s_or_saveexec_b32 s1, s0
	s_add_nc_u64 s[2:3], s[14:15], s[10:11]
	s_wait_alu 0xfffe
	s_xor_b32 exec_lo, exec_lo, s1
	s_cbranch_execz .LBB0_13
; %bb.12:
	s_add_nc_u64 s[10:11], s[12:13], s[10:11]
	v_lshlrev_b64_e32 v[1:2], 4, v[1:2]
	s_load_b64 s[10:11], s[10:11], 0x0
	s_wait_kmcnt 0x0
	v_mul_lo_u32 v6, s11, v60
	v_mul_lo_u32 v7, s10, v61
	v_mad_co_u64_u32 v[4:5], null, s10, v60, 0
	s_delay_alu instid0(VALU_DEP_1) | instskip(SKIP_1) | instid1(VALU_DEP_2)
	v_add3_u32 v5, v5, v7, v6
	v_mul_u32_u24_e32 v6, 63, v3
	v_lshlrev_b64_e32 v[3:4], 4, v[4:5]
	s_delay_alu instid0(VALU_DEP_2) | instskip(NEXT) | instid1(VALU_DEP_1)
	v_sub_nc_u32_e32 v58, v0, v6
	v_lshlrev_b32_e32 v40, 4, v58
	s_delay_alu instid0(VALU_DEP_3) | instskip(SKIP_1) | instid1(VALU_DEP_4)
	v_add_co_u32 v0, s0, s4, v3
	s_wait_alu 0xf1ff
	v_add_co_ci_u32_e64 v3, s0, s5, v4, s0
	v_add_nc_u32_e32 v66, 63, v58
	s_delay_alu instid0(VALU_DEP_3) | instskip(SKIP_1) | instid1(VALU_DEP_3)
	v_add_co_u32 v0, s0, v0, v1
	s_wait_alu 0xf1ff
	v_add_co_ci_u32_e64 v1, s0, v3, v2, s0
	v_add_nc_u32_e32 v64, 0x7e, v58
	s_delay_alu instid0(VALU_DEP_3) | instskip(SKIP_1) | instid1(VALU_DEP_3)
	v_add_co_u32 v36, s0, v0, v40
	s_wait_alu 0xf1ff
	v_add_co_ci_u32_e64 v37, s0, 0, v1, s0
	s_clause 0x9
	global_load_b128 v[0:3], v[36:37], off
	global_load_b128 v[4:7], v[36:37], off offset:1008
	global_load_b128 v[8:11], v[36:37], off offset:2016
	;; [unrolled: 1-line block ×9, first 2 shown]
	v_add_nc_u32_e32 v40, 0, v40
	v_add_nc_u32_e32 v62, 0xbd, v58
	s_wait_loadcnt 0x9
	ds_store_b128 v40, v[0:3]
	s_wait_loadcnt 0x8
	ds_store_b128 v40, v[4:7] offset:1008
	s_wait_loadcnt 0x7
	ds_store_b128 v40, v[8:11] offset:2016
	;; [unrolled: 2-line block ×9, first 2 shown]
.LBB0_13:
	s_or_b32 exec_lo, exec_lo, s1
	v_lshl_add_u32 v69, v58, 4, 0
	s_load_b64 s[2:3], s[2:3], 0x0
	global_wb scope:SCOPE_SE
	s_wait_dscnt 0x0
	s_wait_kmcnt 0x0
	s_barrier_signal -1
	s_barrier_wait -1
	global_inv scope:SCOPE_SE
	ds_load_b128 v[0:3], v69 offset:6720
	ds_load_b128 v[4:7], v69 offset:3360
	;; [unrolled: 1-line block ×8, first 2 shown]
	ds_load_b128 v[32:35], v69
	ds_load_b128 v[36:39], v69 offset:1008
	ds_load_b128 v[40:43], v69 offset:2016
	;; [unrolled: 1-line block ×3, first 2 shown]
	s_mov_b32 s0, 0xe8584caa
	s_mov_b32 s1, 0x3febb67a
	;; [unrolled: 1-line block ×3, first 2 shown]
	s_wait_alu 0xfffe
	s_mov_b32 s4, s0
	global_wb scope:SCOPE_SE
	s_wait_dscnt 0x0
	s_barrier_signal -1
	s_barrier_wait -1
	global_inv scope:SCOPE_SE
	v_add_f64_e32 v[48:49], v[4:5], v[0:1]
	v_add_f64_e32 v[50:51], v[6:7], v[2:3]
	;; [unrolled: 1-line block ×9, first 2 shown]
	v_add_f64_e64 v[78:79], v[6:7], -v[2:3]
	v_add_f64_e32 v[6:7], v[34:35], v[6:7]
	v_add_f64_e32 v[84:85], v[40:41], v[20:21]
	;; [unrolled: 1-line block ×5, first 2 shown]
	v_add_f64_e64 v[94:95], v[26:27], -v[30:31]
	v_add_f64_e64 v[96:97], v[24:25], -v[28:29]
	v_add_f64_e32 v[80:81], v[36:37], v[8:9]
	v_add_f64_e32 v[82:83], v[38:39], v[10:11]
	v_add_f64_e64 v[92:93], v[20:21], -v[16:17]
	v_fma_f64 v[32:33], v[48:49], -0.5, v[32:33]
	v_add_f64_e64 v[48:49], v[4:5], -v[0:1]
	v_fma_f64 v[34:35], v[50:51], -0.5, v[34:35]
	v_add_f64_e64 v[50:51], v[10:11], -v[14:15]
	v_fma_f64 v[36:37], v[52:53], -0.5, v[36:37]
	v_add_f64_e64 v[52:53], v[8:9], -v[12:13]
	v_fma_f64 v[72:73], v[72:73], -0.5, v[44:45]
	v_fma_f64 v[74:75], v[74:75], -0.5, v[46:47]
	v_fma_f64 v[38:39], v[54:55], -0.5, v[38:39]
	v_add_f64_e64 v[54:55], v[22:23], -v[18:19]
	v_fma_f64 v[67:68], v[67:68], -0.5, v[40:41]
	v_fma_f64 v[70:71], v[70:71], -0.5, v[42:43]
	v_add_f64_e32 v[4:5], v[76:77], v[0:1]
	v_add_f64_e32 v[6:7], v[6:7], v[2:3]
	;; [unrolled: 1-line block ×8, first 2 shown]
	v_fma_f64 v[24:25], v[78:79], s[0:1], v[32:33]
	s_wait_alu 0xfffe
	v_fma_f64 v[28:29], v[78:79], s[4:5], v[32:33]
	v_fma_f64 v[26:27], v[48:49], s[4:5], v[34:35]
	;; [unrolled: 1-line block ×15, first 2 shown]
	v_mad_i32_i24 v48, v66, 48, 0
	v_mad_i32_i24 v49, v64, 48, 0
	v_cmp_gt_u32_e64 s0, 21, v58
	v_lshl_add_u32 v50, v58, 5, v69
	ds_store_b128 v50, v[4:7]
	ds_store_b128 v50, v[24:27] offset:16
	ds_store_b128 v50, v[28:31] offset:32
	ds_store_b128 v48, v[12:15]
	ds_store_b128 v48, v[32:35] offset:16
	ds_store_b128 v48, v[36:39] offset:32
	;; [unrolled: 3-line block ×3, first 2 shown]
	s_and_saveexec_b32 s1, s0
	s_cbranch_execz .LBB0_15
; %bb.14:
	v_mad_i32_i24 v4, v62, 48, 0
	ds_store_b128 v4, v[8:11]
	ds_store_b128 v4, v[0:3] offset:16
	ds_store_b128 v4, v[16:19] offset:32
.LBB0_15:
	s_wait_alu 0xfffe
	s_or_b32 exec_lo, exec_lo, s1
	v_lshlrev_b32_e32 v51, 5, v64
	v_lshlrev_b32_e32 v52, 5, v66
	global_wb scope:SCOPE_SE
	s_wait_dscnt 0x0
	s_barrier_signal -1
	s_barrier_wait -1
	v_sub_nc_u32_e32 v4, v49, v51
	v_sub_nc_u32_e32 v20, v48, v52
	global_inv scope:SCOPE_SE
	ds_load_b128 v[12:15], v69
	ds_load_b128 v[36:39], v69 offset:3360
	ds_load_b128 v[40:43], v69 offset:6720
	;; [unrolled: 1-line block ×3, first 2 shown]
	ds_load_b128 v[4:7], v4
	ds_load_b128 v[44:47], v69 offset:4368
	ds_load_b128 v[28:31], v69 offset:5376
	ds_load_b128 v[20:23], v20
	ds_load_b128 v[32:35], v69 offset:8736
	v_lshl_add_u32 v70, v62, 4, 0
	s_and_saveexec_b32 s1, s0
	s_cbranch_execz .LBB0_17
; %bb.16:
	ds_load_b128 v[8:11], v70
	ds_load_b128 v[0:3], v69 offset:6384
	ds_load_b128 v[16:19], v69 offset:9744
.LBB0_17:
	s_wait_alu 0xfffe
	s_or_b32 exec_lo, exec_lo, s1
	v_and_b32_e32 v50, 0xff, v58
	v_and_b32_e32 v59, 0xff, v66
	;; [unrolled: 1-line block ×3, first 2 shown]
	s_mov_b32 s4, 0xe8584caa
	s_mov_b32 s5, 0x3febb67a
	v_mul_lo_u16 v53, 0xab, v50
	v_mul_lo_u16 v55, 0xab, v59
	;; [unrolled: 1-line block ×3, first 2 shown]
	s_mov_b32 s11, 0xbfebb67a
	s_wait_alu 0xfffe
	s_mov_b32 s10, s4
	v_lshrrev_b16 v63, 9, v53
	v_and_b32_e32 v53, 0xff, v62
	v_lshrrev_b16 v55, 9, v55
	v_lshrrev_b16 v117, 9, v54
	s_delay_alu instid0(VALU_DEP_4) | instskip(NEXT) | instid1(VALU_DEP_4)
	v_mul_lo_u16 v65, v63, 3
	v_mul_lo_u16 v53, 0xab, v53
	s_delay_alu instid0(VALU_DEP_4) | instskip(NEXT) | instid1(VALU_DEP_4)
	v_mul_lo_u16 v54, v55, 3
	v_mul_lo_u16 v67, v117, 3
	s_delay_alu instid0(VALU_DEP_4) | instskip(NEXT) | instid1(VALU_DEP_4)
	v_sub_nc_u16 v65, v58, v65
	v_lshrrev_b16 v53, 9, v53
	s_delay_alu instid0(VALU_DEP_4) | instskip(NEXT) | instid1(VALU_DEP_4)
	v_sub_nc_u16 v54, v66, v54
	v_sub_nc_u16 v67, v64, v67
	s_delay_alu instid0(VALU_DEP_4) | instskip(NEXT) | instid1(VALU_DEP_4)
	v_and_b32_e32 v65, 0xff, v65
	v_mul_lo_u16 v68, v53, 3
	s_delay_alu instid0(VALU_DEP_4) | instskip(NEXT) | instid1(VALU_DEP_4)
	v_and_b32_e32 v118, 0xff, v54
	v_and_b32_e32 v119, 0xff, v67
	s_delay_alu instid0(VALU_DEP_4) | instskip(NEXT) | instid1(VALU_DEP_4)
	v_lshlrev_b32_e32 v54, 5, v65
	v_sub_nc_u16 v68, v62, v68
	s_delay_alu instid0(VALU_DEP_4)
	v_lshlrev_b32_e32 v67, 5, v118
	s_clause 0x1
	global_load_b128 v[71:74], v54, s[8:9]
	global_load_b128 v[75:78], v54, s[8:9] offset:16
	v_and_b32_e32 v54, 0xff, v68
	v_lshlrev_b32_e32 v68, 5, v119
	s_clause 0x1
	global_load_b128 v[79:82], v67, s[8:9]
	global_load_b128 v[83:86], v67, s[8:9] offset:16
	v_lshlrev_b32_e32 v67, 5, v54
	s_clause 0x3
	global_load_b128 v[87:90], v68, s[8:9]
	global_load_b128 v[91:94], v68, s[8:9] offset:16
	global_load_b128 v[95:98], v67, s[8:9]
	global_load_b128 v[99:102], v67, s[8:9] offset:16
	global_wb scope:SCOPE_SE
	s_wait_loadcnt_dscnt 0x0
	s_barrier_signal -1
	s_barrier_wait -1
	global_inv scope:SCOPE_SE
	v_mul_f64_e32 v[67:68], v[38:39], v[73:74]
	v_mul_f64_e32 v[103:104], v[42:43], v[77:78]
	;; [unrolled: 1-line block ×16, first 2 shown]
	v_fma_f64 v[36:37], v[36:37], v[71:72], -v[67:68]
	v_fma_f64 v[40:41], v[40:41], v[75:76], -v[103:104]
	v_fma_f64 v[38:39], v[38:39], v[71:72], v[73:74]
	v_fma_f64 v[42:43], v[42:43], v[75:76], v[77:78]
	v_fma_f64 v[44:45], v[44:45], v[79:80], -v[105:106]
	v_fma_f64 v[67:68], v[24:25], v[83:84], -v[107:108]
	v_fma_f64 v[46:47], v[46:47], v[79:80], v[81:82]
	v_fma_f64 v[71:72], v[26:27], v[83:84], v[85:86]
	;; [unrolled: 4-line block ×4, first 2 shown]
	v_add_f64_e32 v[85:86], v[12:13], v[36:37]
	v_add_f64_e32 v[0:1], v[36:37], v[40:41]
	;; [unrolled: 1-line block ×4, first 2 shown]
	v_add_f64_e64 v[38:39], v[38:39], -v[42:43]
	v_add_f64_e32 v[73:74], v[44:45], v[67:68]
	v_add_f64_e32 v[91:92], v[22:23], v[46:47]
	;; [unrolled: 1-line block ×7, first 2 shown]
	v_add_f64_e64 v[97:98], v[30:31], -v[34:35]
	v_add_f64_e32 v[81:82], v[24:25], v[16:17]
	v_add_f64_e64 v[99:100], v[28:29], -v[32:33]
	v_add_f64_e32 v[83:84], v[26:27], v[18:19]
	v_add_f64_e64 v[101:102], v[26:27], -v[18:19]
	v_add_f64_e64 v[105:106], v[24:25], -v[16:17]
	v_add_f64_e32 v[89:90], v[20:21], v[44:45]
	v_fma_f64 v[0:1], v[0:1], -0.5, v[12:13]
	v_add_f64_e64 v[12:13], v[36:37], -v[40:41]
	v_fma_f64 v[2:3], v[2:3], -0.5, v[14:15]
	v_add_f64_e64 v[14:15], v[46:47], -v[71:72]
	;; [unrolled: 2-line block ×3, first 2 shown]
	v_fma_f64 v[75:76], v[75:76], -0.5, v[22:23]
	v_add_f64_e32 v[20:21], v[85:86], v[40:41]
	v_fma_f64 v[4:5], v[77:78], -0.5, v[4:5]
	v_add_f64_e32 v[22:23], v[87:88], v[42:43]
	;; [unrolled: 2-line block ×5, first 2 shown]
	v_add_f64_e32 v[28:29], v[89:90], v[67:68]
	v_fma_f64 v[36:37], v[38:39], s[4:5], v[0:1]
	s_wait_alu 0xfffe
	v_fma_f64 v[40:41], v[38:39], s[10:11], v[0:1]
	v_fma_f64 v[38:39], v[12:13], s[10:11], v[2:3]
	;; [unrolled: 1-line block ×15, first 2 shown]
	v_and_b32_e32 v14, 0xffff, v63
	v_and_b32_e32 v15, 0xffff, v55
	;; [unrolled: 1-line block ×3, first 2 shown]
	v_sub_nc_u32_e32 v12, 0, v52
	v_lshlrev_b32_e32 v52, 4, v65
	v_mul_u32_u24_e32 v14, 0x90, v14
	v_sub_nc_u32_e32 v13, 0, v51
	v_mul_u32_u24_e32 v15, 0x90, v15
	v_mul_u32_u24_e32 v51, 0x90, v55
	v_lshlrev_b32_e32 v55, 4, v118
	v_lshlrev_b32_e32 v63, 4, v119
	v_add3_u32 v14, 0, v14, v52
	s_delay_alu instid0(VALU_DEP_3) | instskip(NEXT) | instid1(VALU_DEP_3)
	v_add3_u32 v15, 0, v15, v55
	v_add3_u32 v51, 0, v51, v63
	ds_store_b128 v14, v[20:23]
	ds_store_b128 v14, v[36:39] offset:48
	ds_store_b128 v14, v[40:43] offset:96
	ds_store_b128 v15, v[28:31]
	ds_store_b128 v15, v[44:47] offset:48
	ds_store_b128 v15, v[71:74] offset:96
	ds_store_b128 v51, v[32:35]
	ds_store_b128 v51, v[75:78] offset:48
	ds_store_b128 v51, v[79:82] offset:96
	s_and_saveexec_b32 s1, s0
	s_cbranch_execz .LBB0_19
; %bb.18:
	v_add_f64_e32 v[10:11], v[10:11], v[26:27]
	v_add_f64_e32 v[8:9], v[8:9], v[24:25]
	v_and_b32_e32 v14, 0xffff, v53
	v_lshlrev_b32_e32 v15, 4, v54
	s_delay_alu instid0(VALU_DEP_2) | instskip(NEXT) | instid1(VALU_DEP_1)
	v_mul_u32_u24_e32 v14, 0x90, v14
	v_add3_u32 v14, 0, v14, v15
	v_add_f64_e32 v[10:11], v[10:11], v[18:19]
	v_add_f64_e32 v[8:9], v[8:9], v[16:17]
	ds_store_b128 v14, v[8:11]
	ds_store_b128 v14, v[0:3] offset:48
	ds_store_b128 v14, v[4:7] offset:96
.LBB0_19:
	s_wait_alu 0xfffe
	s_or_b32 exec_lo, exec_lo, s1
	v_mul_lo_u16 v8, v50, 57
	global_wb scope:SCOPE_SE
	s_wait_dscnt 0x0
	s_barrier_signal -1
	s_barrier_wait -1
	global_inv scope:SCOPE_SE
	v_lshrrev_b16 v20, 9, v8
	v_mul_lo_u16 v8, v59, 57
	v_add_nc_u32_e32 v71, v49, v13
	v_add_nc_u32_e32 v72, v48, v12
	s_mov_b32 s0, 0x134454ff
	v_mul_lo_u16 v9, v20, 9
	v_lshrrev_b16 v55, 9, v8
	s_mov_b32 s1, 0x3fee6f0e
	s_mov_b32 s5, 0xbfee6f0e
	s_wait_alu 0xfffe
	s_mov_b32 s4, s0
	v_sub_nc_u16 v8, v58, v9
	v_mul_lo_u16 v9, v55, 9
	v_and_b32_e32 v20, 0xffff, v20
	s_delay_alu instid0(VALU_DEP_3) | instskip(NEXT) | instid1(VALU_DEP_3)
	v_and_b32_e32 v63, 0xff, v8
	v_sub_nc_u16 v8, v66, v9
	s_delay_alu instid0(VALU_DEP_3) | instskip(NEXT) | instid1(VALU_DEP_3)
	v_mul_u32_u24_e32 v20, 0x2d0, v20
	v_lshlrev_b32_e32 v18, 6, v63
	s_delay_alu instid0(VALU_DEP_3)
	v_and_b32_e32 v65, 0xff, v8
	s_clause 0x2
	global_load_b128 v[8:11], v18, s[8:9] offset:96
	global_load_b128 v[14:17], v18, s[8:9] offset:112
	;; [unrolled: 1-line block ×3, first 2 shown]
	v_lshlrev_b32_e32 v19, 6, v65
	s_clause 0x4
	global_load_b128 v[25:28], v18, s[8:9] offset:144
	global_load_b128 v[29:32], v19, s[8:9] offset:96
	;; [unrolled: 1-line block ×5, first 2 shown]
	ds_load_b128 v[49:52], v71
	ds_load_b128 v[73:76], v69 offset:4032
	ds_load_b128 v[77:80], v69 offset:6048
	ds_load_b128 v[81:84], v69 offset:8064
	ds_load_b128 v[85:88], v69 offset:3024
	ds_load_b128 v[89:92], v69 offset:5040
	ds_load_b128 v[93:96], v69 offset:7056
	ds_load_b128 v[97:100], v69 offset:9072
	ds_load_b128 v[45:48], v69
	ds_load_b128 v[101:104], v72
	global_wb scope:SCOPE_SE
	s_wait_loadcnt_dscnt 0x0
	s_barrier_signal -1
	s_barrier_wait -1
	global_inv scope:SCOPE_SE
	v_mul_f64_e32 v[12:13], v[51:52], v[10:11]
	v_mul_f64_e32 v[18:19], v[75:76], v[16:17]
	;; [unrolled: 1-line block ×16, first 2 shown]
	v_fma_f64 v[12:13], v[49:50], v[8:9], -v[12:13]
	v_fma_f64 v[18:19], v[73:74], v[14:15], -v[18:19]
	;; [unrolled: 1-line block ×3, first 2 shown]
	v_fma_f64 v[14:15], v[75:76], v[14:15], v[16:17]
	v_fma_f64 v[16:17], v[79:80], v[21:22], v[23:24]
	;; [unrolled: 1-line block ×3, first 2 shown]
	v_fma_f64 v[10:11], v[81:82], v[25:26], -v[67:68]
	v_fma_f64 v[23:24], v[83:84], v[25:26], v[27:28]
	v_fma_f64 v[25:26], v[89:90], v[33:34], -v[107:108]
	v_fma_f64 v[27:28], v[93:94], v[37:38], -v[109:110]
	v_fma_f64 v[33:34], v[91:92], v[33:34], v[35:36]
	v_fma_f64 v[35:36], v[95:96], v[37:38], v[39:40]
	v_fma_f64 v[21:22], v[85:86], v[29:30], -v[105:106]
	v_fma_f64 v[29:30], v[87:88], v[29:30], v[31:32]
	v_fma_f64 v[31:32], v[97:98], v[41:42], -v[111:112]
	v_fma_f64 v[37:38], v[99:100], v[41:42], v[43:44]
	v_add_f64_e32 v[77:78], v[45:46], v[12:13]
	v_add_f64_e64 v[97:98], v[12:13], -v[18:19]
	v_add_f64_e32 v[39:40], v[18:19], v[49:50]
	v_add_f64_e32 v[43:44], v[14:15], v[16:17]
	;; [unrolled: 1-line block ×5, first 2 shown]
	v_add_f64_e64 v[79:80], v[8:9], -v[23:24]
	v_add_f64_e32 v[53:54], v[25:26], v[27:28]
	v_add_f64_e64 v[89:90], v[12:13], -v[10:11]
	v_add_f64_e32 v[73:74], v[33:34], v[35:36]
	v_add_f64_e32 v[85:86], v[101:102], v[21:22]
	v_add_f64_e64 v[81:82], v[14:15], -v[16:17]
	v_add_f64_e32 v[67:68], v[21:22], v[31:32]
	v_add_f64_e32 v[75:76], v[29:30], v[37:38]
	;; [unrolled: 1-line block ×3, first 2 shown]
	v_add_f64_e64 v[91:92], v[29:30], -v[37:38]
	v_add_f64_e64 v[93:94], v[21:22], -v[31:32]
	;; [unrolled: 1-line block ×15, first 2 shown]
	v_fma_f64 v[39:40], v[39:40], -0.5, v[45:46]
	v_fma_f64 v[43:44], v[43:44], -0.5, v[47:48]
	;; [unrolled: 1-line block ×3, first 2 shown]
	v_add_f64_e64 v[45:46], v[18:19], -v[49:50]
	v_fma_f64 v[47:48], v[51:52], -0.5, v[47:48]
	v_fma_f64 v[53:54], v[53:54], -0.5, v[101:102]
	v_add_f64_e64 v[51:52], v[33:34], -v[35:36]
	v_fma_f64 v[73:74], v[73:74], -0.5, v[103:104]
	v_add_f64_e32 v[18:19], v[77:78], v[18:19]
	v_add_f64_e32 v[25:26], v[85:86], v[25:26]
	v_fma_f64 v[67:68], v[67:68], -0.5, v[101:102]
	v_fma_f64 v[75:76], v[75:76], -0.5, v[103:104]
	v_add_f64_e64 v[103:104], v[8:9], -v[14:15]
	v_add_f64_e64 v[8:9], v[14:15], -v[8:9]
	v_add_f64_e32 v[14:15], v[83:84], v[14:15]
	v_add_f64_e64 v[101:102], v[49:50], -v[10:11]
	v_add_f64_e32 v[33:34], v[87:88], v[33:34]
	v_add_f64_e32 v[97:98], v[97:98], v[99:100]
	v_fma_f64 v[77:78], v[79:80], s[0:1], v[39:40]
	s_wait_alu 0xfffe
	v_fma_f64 v[39:40], v[79:80], s[4:5], v[39:40]
	v_fma_f64 v[85:86], v[89:90], s[4:5], v[43:44]
	;; [unrolled: 1-line block ×15, first 2 shown]
	s_mov_b32 s0, 0x4755a5e
	s_mov_b32 s1, 0x3fe2cf23
	;; [unrolled: 1-line block ×3, first 2 shown]
	s_wait_alu 0xfffe
	s_mov_b32 s4, s0
	v_add_f64_e32 v[18:19], v[18:19], v[49:50]
	v_add_f64_e32 v[14:15], v[14:15], v[16:17]
	;; [unrolled: 1-line block ×11, first 2 shown]
	v_fma_f64 v[29:30], v[81:82], s[0:1], v[77:78]
	s_wait_alu 0xfffe
	v_fma_f64 v[33:34], v[81:82], s[4:5], v[39:40]
	v_fma_f64 v[49:50], v[45:46], s[4:5], v[85:86]
	;; [unrolled: 1-line block ×15, first 2 shown]
	s_mov_b32 s0, 0x372fe950
	s_mov_b32 s1, 0x3fd3c6ef
	v_add_f64_e32 v[21:22], v[18:19], v[10:11]
	v_add_f64_e32 v[23:24], v[14:15], v[23:24]
	;; [unrolled: 1-line block ×4, first 2 shown]
	s_wait_alu 0xfffe
	v_fma_f64 v[29:30], v[97:98], s[0:1], v[29:30]
	v_fma_f64 v[33:34], v[97:98], s[0:1], v[33:34]
	;; [unrolled: 1-line block ×3, first 2 shown]
	v_and_b32_e32 v49, 0xffff, v55
	v_fma_f64 v[37:38], v[12:13], s[0:1], v[35:36]
	v_fma_f64 v[41:42], v[12:13], s[0:1], v[39:40]
	;; [unrolled: 1-line block ×13, first 2 shown]
	v_lshlrev_b32_e32 v50, 4, v63
	v_mul_u32_u24_e32 v49, 0x2d0, v49
	v_lshlrev_b32_e32 v51, 4, v65
	v_cmp_gt_u32_e64 s0, 27, v58
	s_delay_alu instid0(VALU_DEP_4) | instskip(NEXT) | instid1(VALU_DEP_3)
	v_add3_u32 v20, 0, v20, v50
	v_add3_u32 v49, 0, v49, v51
	ds_store_b128 v20, v[21:24]
	ds_store_b128 v20, v[29:32] offset:144
	ds_store_b128 v20, v[37:40] offset:288
	;; [unrolled: 1-line block ×4, first 2 shown]
	ds_store_b128 v49, v[25:28]
	ds_store_b128 v49, v[45:48] offset:144
	ds_store_b128 v49, v[8:11] offset:288
	;; [unrolled: 1-line block ×4, first 2 shown]
	global_wb scope:SCOPE_SE
	s_wait_dscnt 0x0
	s_barrier_signal -1
	s_barrier_wait -1
	global_inv scope:SCOPE_SE
	ds_load_b128 v[28:31], v69
	ds_load_b128 v[48:51], v69 offset:1440
	ds_load_b128 v[44:47], v69 offset:2880
	;; [unrolled: 1-line block ×6, first 2 shown]
                                        ; implicit-def: $vgpr26_vgpr27
                                        ; implicit-def: $vgpr22_vgpr23
	s_and_saveexec_b32 s1, s0
	s_cbranch_execz .LBB0_21
; %bb.20:
	ds_load_b128 v[8:11], v72
	ds_load_b128 v[12:15], v69 offset:2448
	ds_load_b128 v[16:19], v69 offset:3888
	;; [unrolled: 1-line block ×6, first 2 shown]
.LBB0_21:
	s_wait_alu 0xfffe
	s_or_b32 exec_lo, exec_lo, s1
	v_subrev_nc_u32_e32 v63, 45, v58
	v_cmp_gt_u32_e64 s1, 45, v58
	s_mov_b32 s10, 0x37e14327
	s_mov_b32 s12, 0xe976ee23
	;; [unrolled: 1-line block ×4, first 2 shown]
	s_wait_alu 0xf1ff
	v_cndmask_b32_e64 v63, v63, v58, s1
	v_mov_b32_e32 v68, 0
	s_mov_b32 s4, 0x429ad128
	s_mov_b32 s5, 0x3febfeb5
	;; [unrolled: 1-line block ×3, first 2 shown]
	v_mul_i32_i24_e32 v67, 6, v63
	v_lshlrev_b32_e32 v63, 4, v63
	s_mov_b32 s19, 0x3fac98ee
	s_mov_b32 s14, 0xaaaaaaaa
	;; [unrolled: 1-line block ×3, first 2 shown]
	v_lshlrev_b64_e32 v[73:74], 4, v[67:68]
	s_mov_b32 s15, 0xbff2aaaa
	s_mov_b32 s16, 0x5476071b
	;; [unrolled: 1-line block ×5, first 2 shown]
	v_add_co_u32 v93, s1, s8, v73
	s_wait_alu 0xf1ff
	v_add_co_ci_u32_e64 v94, s1, s9, v74, s1
	s_mov_b32 s25, 0xbfd5d0dc
	s_mov_b32 s20, s16
	s_clause 0x5
	global_load_b128 v[73:76], v[93:94], off offset:672
	global_load_b128 v[77:80], v[93:94], off offset:688
	;; [unrolled: 1-line block ×6, first 2 shown]
	s_mov_b32 s24, s22
	s_mov_b32 s26, 0x37c3f68c
	;; [unrolled: 1-line block ×3, first 2 shown]
	v_cmp_lt_u32_e64 s1, 44, v58
	global_wb scope:SCOPE_SE
	s_wait_loadcnt_dscnt 0x0
	s_barrier_signal -1
	s_barrier_wait -1
	global_inv scope:SCOPE_SE
	s_wait_alu 0xf1ff
	v_cndmask_b32_e64 v65, 0, 0x13b0, s1
	s_delay_alu instid0(VALU_DEP_1)
	v_add3_u32 v63, 0, v65, v63
	v_mul_f64_e32 v[97:98], v[50:51], v[75:76]
	v_mul_f64_e32 v[75:76], v[48:49], v[75:76]
	;; [unrolled: 1-line block ×12, first 2 shown]
	v_fma_f64 v[48:49], v[48:49], v[73:74], -v[97:98]
	v_fma_f64 v[50:51], v[50:51], v[73:74], v[75:76]
	v_fma_f64 v[44:45], v[44:45], v[77:78], -v[99:100]
	v_fma_f64 v[46:47], v[46:47], v[77:78], v[79:80]
	;; [unrolled: 2-line block ×6, first 2 shown]
	v_add_f64_e32 v[73:74], v[48:49], v[52:53]
	v_add_f64_e32 v[75:76], v[50:51], v[54:55]
	v_add_f64_e32 v[77:78], v[44:45], v[40:41]
	v_add_f64_e32 v[79:80], v[46:47], v[42:43]
	v_add_f64_e64 v[40:41], v[44:45], -v[40:41]
	v_add_f64_e64 v[42:43], v[46:47], -v[42:43]
	v_add_f64_e32 v[44:45], v[36:37], v[32:33]
	v_add_f64_e32 v[46:47], v[38:39], v[34:35]
	v_add_f64_e64 v[32:33], v[32:33], -v[36:37]
	v_add_f64_e64 v[34:35], v[34:35], -v[38:39]
	;; [unrolled: 1-line block ×4, first 2 shown]
	v_add_f64_e32 v[48:49], v[77:78], v[73:74]
	v_add_f64_e32 v[50:51], v[79:80], v[75:76]
	v_add_f64_e64 v[52:53], v[73:74], -v[44:45]
	v_add_f64_e64 v[54:55], v[75:76], -v[46:47]
	;; [unrolled: 1-line block ×6, first 2 shown]
	v_add_f64_e32 v[40:41], v[32:33], v[40:41]
	v_add_f64_e32 v[42:43], v[34:35], v[42:43]
	v_add_f64_e64 v[32:33], v[36:37], -v[32:33]
	v_add_f64_e64 v[34:35], v[38:39], -v[34:35]
	;; [unrolled: 1-line block ×4, first 2 shown]
	v_add_f64_e32 v[48:49], v[44:45], v[48:49]
	v_add_f64_e32 v[50:51], v[46:47], v[50:51]
	v_add_f64_e64 v[44:45], v[44:45], -v[77:78]
	v_add_f64_e64 v[46:47], v[46:47], -v[79:80]
	s_wait_alu 0xfffe
	v_mul_f64_e32 v[52:53], s[10:11], v[52:53]
	v_mul_f64_e32 v[54:55], s[10:11], v[54:55]
	;; [unrolled: 1-line block ×6, first 2 shown]
	v_add_f64_e32 v[36:37], v[40:41], v[36:37]
	v_add_f64_e32 v[38:39], v[42:43], v[38:39]
	;; [unrolled: 1-line block ×4, first 2 shown]
	v_mul_f64_e32 v[77:78], s[18:19], v[44:45]
	v_mul_f64_e32 v[79:80], s[18:19], v[46:47]
	v_fma_f64 v[40:41], v[44:45], s[18:19], v[52:53]
	v_fma_f64 v[42:43], v[46:47], s[18:19], v[54:55]
	v_fma_f64 v[44:45], v[32:33], s[22:23], v[81:82]
	v_fma_f64 v[46:47], v[34:35], s[22:23], v[83:84]
	v_fma_f64 v[81:82], v[85:86], s[4:5], -v[81:82]
	v_fma_f64 v[83:84], v[87:88], s[4:5], -v[83:84]
	;; [unrolled: 1-line block ×6, first 2 shown]
	v_fma_f64 v[48:49], v[48:49], s[14:15], v[28:29]
	v_fma_f64 v[50:51], v[50:51], s[14:15], v[30:31]
	v_fma_f64 v[73:74], v[73:74], s[16:17], -v[77:78]
	v_fma_f64 v[75:76], v[75:76], s[16:17], -v[79:80]
	v_fma_f64 v[77:78], v[36:37], s[26:27], v[44:45]
	v_fma_f64 v[79:80], v[38:39], s[26:27], v[46:47]
	;; [unrolled: 1-line block ×6, first 2 shown]
	v_add_f64_e32 v[85:86], v[40:41], v[48:49]
	v_add_f64_e32 v[87:88], v[42:43], v[50:51]
	;; [unrolled: 1-line block ×7, first 2 shown]
	v_add_f64_e64 v[34:35], v[87:88], -v[77:78]
	v_add_f64_e32 v[36:37], v[83:84], v[52:53]
	v_add_f64_e64 v[38:39], v[54:55], -v[81:82]
	v_add_f64_e64 v[40:41], v[48:49], -v[44:45]
	v_add_f64_e32 v[42:43], v[46:47], v[50:51]
	v_add_f64_e32 v[44:45], v[44:45], v[48:49]
	v_add_f64_e64 v[46:47], v[50:51], -v[46:47]
	v_add_f64_e64 v[48:49], v[52:53], -v[83:84]
	v_add_f64_e32 v[50:51], v[81:82], v[54:55]
	v_add_f64_e64 v[52:53], v[85:86], -v[79:80]
	v_add_f64_e32 v[54:55], v[77:78], v[87:88]
	ds_store_b128 v63, v[28:31]
	ds_store_b128 v63, v[32:35] offset:720
	ds_store_b128 v63, v[36:39] offset:1440
	;; [unrolled: 1-line block ×6, first 2 shown]
	s_and_saveexec_b32 s1, s0
	s_cbranch_execz .LBB0_23
; %bb.22:
	v_mul_lo_u16 v28, 0x6d, v59
	s_delay_alu instid0(VALU_DEP_1) | instskip(NEXT) | instid1(VALU_DEP_1)
	v_lshrrev_b16 v28, 8, v28
	v_sub_nc_u16 v29, v66, v28
	s_delay_alu instid0(VALU_DEP_1) | instskip(NEXT) | instid1(VALU_DEP_1)
	v_lshrrev_b16 v29, 1, v29
	v_and_b32_e32 v29, 0x7f, v29
	s_delay_alu instid0(VALU_DEP_1) | instskip(NEXT) | instid1(VALU_DEP_1)
	v_add_nc_u16 v28, v29, v28
	v_lshrrev_b16 v28, 5, v28
	s_delay_alu instid0(VALU_DEP_1) | instskip(NEXT) | instid1(VALU_DEP_1)
	v_mul_lo_u16 v28, v28, 45
	v_sub_nc_u16 v28, v66, v28
	s_delay_alu instid0(VALU_DEP_1) | instskip(NEXT) | instid1(VALU_DEP_1)
	v_and_b32_e32 v59, 0xff, v28
	v_mul_u32_u24_e32 v28, 6, v59
	s_delay_alu instid0(VALU_DEP_1)
	v_lshlrev_b32_e32 v48, 4, v28
	s_clause 0x5
	global_load_b128 v[28:31], v48, s[8:9] offset:688
	global_load_b128 v[32:35], v48, s[8:9] offset:736
	;; [unrolled: 1-line block ×6, first 2 shown]
	s_wait_loadcnt 0x5
	v_mul_f64_e32 v[52:53], v[16:17], v[30:31]
	s_wait_loadcnt 0x4
	v_mul_f64_e32 v[54:55], v[20:21], v[34:35]
	;; [unrolled: 2-line block ×4, first 2 shown]
	v_mul_f64_e32 v[30:31], v[18:19], v[30:31]
	v_mul_f64_e32 v[34:35], v[22:23], v[34:35]
	;; [unrolled: 1-line block ×4, first 2 shown]
	s_wait_loadcnt 0x1
	v_mul_f64_e32 v[77:78], v[6:7], v[46:47]
	s_wait_loadcnt 0x0
	v_mul_f64_e32 v[79:80], v[2:3], v[50:51]
	v_mul_f64_e32 v[50:51], v[0:1], v[50:51]
	;; [unrolled: 1-line block ×3, first 2 shown]
	v_fma_f64 v[18:19], v[18:19], v[28:29], v[52:53]
	v_fma_f64 v[22:23], v[22:23], v[32:33], v[54:55]
	;; [unrolled: 1-line block ×4, first 2 shown]
	v_fma_f64 v[16:17], v[16:17], v[28:29], -v[30:31]
	v_fma_f64 v[20:21], v[20:21], v[32:33], -v[34:35]
	;; [unrolled: 1-line block ×6, first 2 shown]
	v_fma_f64 v[2:3], v[2:3], v[48:49], v[50:51]
	v_fma_f64 v[6:7], v[6:7], v[44:45], v[46:47]
	v_add_f64_e32 v[28:29], v[18:19], v[22:23]
	v_add_f64_e32 v[30:31], v[14:15], v[26:27]
	v_add_f64_e64 v[14:15], v[14:15], -v[26:27]
	v_add_f64_e32 v[32:33], v[16:17], v[20:21]
	v_add_f64_e64 v[16:17], v[16:17], -v[20:21]
	;; [unrolled: 2-line block ×3, first 2 shown]
	v_add_f64_e32 v[0:1], v[0:1], v[4:5]
	v_add_f64_e32 v[20:21], v[2:3], v[6:7]
	v_add_f64_e64 v[4:5], v[12:13], -v[24:25]
	v_add_f64_e64 v[2:3], v[6:7], -v[2:3]
	;; [unrolled: 1-line block ×3, first 2 shown]
	v_add_f64_e32 v[12:13], v[28:29], v[30:31]
	v_add_f64_e32 v[18:19], v[32:33], v[34:35]
	v_add_f64_e64 v[22:23], v[36:37], -v[16:17]
	v_add_f64_e64 v[26:27], v[34:35], -v[0:1]
	;; [unrolled: 1-line block ×7, first 2 shown]
	v_add_f64_e32 v[16:17], v[36:37], v[16:17]
	v_add_f64_e64 v[36:37], v[4:5], -v[36:37]
	v_add_f64_e32 v[6:7], v[2:3], v[6:7]
	v_add_f64_e64 v[48:49], v[14:15], -v[2:3]
	;; [unrolled: 2-line block ×3, first 2 shown]
	v_add_f64_e32 v[18:19], v[0:1], v[18:19]
	v_mul_f64_e32 v[22:23], s[12:13], v[22:23]
	v_mul_f64_e32 v[26:27], s[10:11], v[26:27]
	;; [unrolled: 1-line block ×4, first 2 shown]
	v_add_f64_e32 v[4:5], v[16:17], v[4:5]
	v_add_f64_e32 v[6:7], v[6:7], v[14:15]
	;; [unrolled: 1-line block ×3, first 2 shown]
	v_add_f64_e64 v[10:11], v[28:29], -v[30:31]
	v_mul_f64_e32 v[28:29], s[18:19], v[20:21]
	v_mul_f64_e32 v[30:31], s[12:13], v[40:41]
	v_add_f64_e32 v[0:1], v[8:9], v[18:19]
	v_mul_f64_e32 v[40:41], s[4:5], v[42:43]
	v_add_f64_e64 v[8:9], v[32:33], -v[34:35]
	v_mul_f64_e32 v[32:33], s[18:19], v[44:45]
	v_fma_f64 v[14:15], v[36:37], s[22:23], v[22:23]
	v_fma_f64 v[16:17], v[20:21], s[18:19], v[24:25]
	;; [unrolled: 1-line block ×3, first 2 shown]
	v_fma_f64 v[34:35], v[36:37], s[24:25], -v[46:47]
	v_fma_f64 v[22:23], v[38:39], s[4:5], -v[22:23]
	v_fma_f64 v[12:13], v[12:13], s[14:15], v[2:3]
	v_fma_f64 v[24:25], v[10:11], s[20:21], -v[24:25]
	v_fma_f64 v[10:11], v[10:11], s[16:17], -v[28:29]
	v_fma_f64 v[28:29], v[48:49], s[22:23], v[30:31]
	v_fma_f64 v[18:19], v[18:19], s[14:15], v[0:1]
	v_fma_f64 v[36:37], v[48:49], s[24:25], -v[40:41]
	v_fma_f64 v[26:27], v[8:9], s[20:21], -v[26:27]
	;; [unrolled: 1-line block ×4, first 2 shown]
	v_fma_f64 v[32:33], v[4:5], s[26:27], v[14:15]
	v_fma_f64 v[34:35], v[4:5], s[26:27], v[34:35]
	;; [unrolled: 1-line block ×3, first 2 shown]
	v_add_f64_e32 v[16:17], v[16:17], v[12:13]
	v_add_f64_e32 v[22:23], v[24:25], v[12:13]
	;; [unrolled: 1-line block ×3, first 2 shown]
	v_fma_f64 v[28:29], v[6:7], s[26:27], v[28:29]
	v_add_f64_e32 v[38:39], v[20:21], v[18:19]
	v_fma_f64 v[36:37], v[6:7], s[26:27], v[36:37]
	v_add_f64_e32 v[40:41], v[26:27], v[18:19]
	;; [unrolled: 2-line block ×3, first 2 shown]
	v_add_f64_e64 v[26:27], v[16:17], -v[32:33]
	v_add_f64_e32 v[10:11], v[34:35], v[22:23]
	v_add_f64_e64 v[22:23], v[22:23], -v[34:35]
	v_add_f64_e32 v[6:7], v[32:33], v[16:17]
	v_add_f64_e32 v[24:25], v[28:29], v[38:39]
	;; [unrolled: 1-line block ×4, first 2 shown]
	v_add_f64_e64 v[14:15], v[12:13], -v[4:5]
	v_add_f64_e64 v[16:17], v[8:9], -v[30:31]
	v_add_f64_e32 v[12:13], v[30:31], v[8:9]
	v_add_f64_e64 v[8:9], v[40:41], -v[36:37]
	v_add_f64_e64 v[4:5], v[38:39], -v[28:29]
	v_lshl_add_u32 v28, v59, 4, 0
	ds_store_b128 v28, v[0:3] offset:5040
	ds_store_b128 v28, v[24:27] offset:5760
	ds_store_b128 v28, v[20:23] offset:6480
	ds_store_b128 v28, v[16:19] offset:7200
	ds_store_b128 v28, v[12:15] offset:7920
	ds_store_b128 v28, v[8:11] offset:8640
	ds_store_b128 v28, v[4:7] offset:9360
.LBB0_23:
	s_wait_alu 0xfffe
	s_or_b32 exec_lo, exec_lo, s1
	v_mov_b32_e32 v59, v68
	v_mov_b32_e32 v67, v68
	;; [unrolled: 1-line block ×4, first 2 shown]
	global_wb scope:SCOPE_SE
	s_wait_dscnt 0x0
	v_lshlrev_b64_e32 v[8:9], 4, v[58:59]
	v_lshlrev_b64_e32 v[0:1], 4, v[66:67]
	;; [unrolled: 1-line block ×3, first 2 shown]
	s_barrier_signal -1
	s_barrier_wait -1
	global_inv scope:SCOPE_SE
	v_add_co_u32 v2, s0, s8, v8
	s_wait_alu 0xf1ff
	v_add_co_ci_u32_e64 v3, s0, s9, v9, s0
	v_add_co_u32 v14, s0, s8, v0
	s_wait_alu 0xf1ff
	v_add_co_ci_u32_e64 v15, s0, s9, v1, s0
	v_lshlrev_b64_e32 v[0:1], 4, v[62:63]
	v_add_co_u32 v12, s0, s8, v10
	s_wait_alu 0xf1ff
	v_add_co_ci_u32_e64 v13, s0, s9, v11, s0
	global_load_b128 v[4:7], v[2:3], off offset:4992
	v_add_co_u32 v10, s0, s8, v0
	s_wait_alu 0xf1ff
	v_add_co_ci_u32_e64 v11, s0, s9, v1, s0
	s_clause 0x3
	global_load_b128 v[16:19], v[14:15], off offset:4992
	global_load_b128 v[20:23], v[12:13], off offset:4992
	;; [unrolled: 1-line block ×4, first 2 shown]
	ds_load_b128 v[32:35], v69 offset:5040
	ds_load_b128 v[36:39], v69 offset:6048
	;; [unrolled: 1-line block ×5, first 2 shown]
	v_cmp_ne_u32_e64 s0, 0, v58
	s_wait_loadcnt_dscnt 0x404
	v_mul_f64_e32 v[0:1], v[34:35], v[6:7]
	v_mul_f64_e32 v[6:7], v[32:33], v[6:7]
	s_wait_loadcnt_dscnt 0x303
	v_mul_f64_e32 v[52:53], v[38:39], v[18:19]
	v_mul_f64_e32 v[18:19], v[36:37], v[18:19]
	;; [unrolled: 3-line block ×5, first 2 shown]
	v_fma_f64 v[0:1], v[32:33], v[4:5], -v[0:1]
	v_fma_f64 v[34:35], v[34:35], v[4:5], v[6:7]
	v_fma_f64 v[36:37], v[36:37], v[16:17], -v[52:53]
	v_fma_f64 v[38:39], v[38:39], v[16:17], v[18:19]
	;; [unrolled: 2-line block ×5, first 2 shown]
	ds_load_b128 v[4:7], v69
	ds_load_b128 v[16:19], v72
	;; [unrolled: 1-line block ×4, first 2 shown]
	ds_load_b128 v[28:31], v69 offset:4032
	global_wb scope:SCOPE_SE
	s_wait_dscnt 0x0
	s_barrier_signal -1
	s_barrier_wait -1
	global_inv scope:SCOPE_SE
	v_add_f64_e64 v[32:33], v[4:5], -v[0:1]
	v_lshlrev_b32_e32 v0, 4, v58
	v_add_f64_e64 v[34:35], v[6:7], -v[34:35]
	v_add_f64_e64 v[36:37], v[16:17], -v[36:37]
	;; [unrolled: 1-line block ×9, first 2 shown]
	v_fma_f64 v[4:5], v[4:5], 2.0, -v[32:33]
	v_fma_f64 v[6:7], v[6:7], 2.0, -v[34:35]
	;; [unrolled: 1-line block ×10, first 2 shown]
	ds_store_b128 v69, v[4:7]
	ds_store_b128 v69, v[32:35] offset:5040
	ds_store_b128 v72, v[16:19]
	ds_store_b128 v72, v[36:39] offset:5040
	;; [unrolled: 2-line block ×4, first 2 shown]
	ds_store_b128 v69, v[28:31] offset:4032
	ds_store_b128 v69, v[48:51] offset:9072
	global_wb scope:SCOPE_SE
	s_wait_dscnt 0x0
	s_barrier_signal -1
	s_barrier_wait -1
	global_inv scope:SCOPE_SE
	ds_load_b128 v[4:7], v69
	v_sub_nc_u32_e32 v20, 0, v0
                                        ; implicit-def: $vgpr0_vgpr1
                                        ; implicit-def: $vgpr16_vgpr17
                                        ; implicit-def: $vgpr18_vgpr19
	s_and_saveexec_b32 s1, s0
	s_wait_alu 0xfffe
	s_xor_b32 s0, exec_lo, s1
	s_cbranch_execz .LBB0_25
; %bb.24:
	global_load_b128 v[21:24], v[2:3], off offset:10032
	ds_load_b128 v[0:3], v20 offset:10080
	s_wait_dscnt 0x0
	v_add_f64_e64 v[16:17], v[4:5], -v[0:1]
	v_add_f64_e32 v[18:19], v[6:7], v[2:3]
	v_add_f64_e64 v[2:3], v[6:7], -v[2:3]
	v_add_f64_e32 v[0:1], v[4:5], v[0:1]
	s_delay_alu instid0(VALU_DEP_4) | instskip(NEXT) | instid1(VALU_DEP_4)
	v_mul_f64_e32 v[6:7], 0.5, v[16:17]
	v_mul_f64_e32 v[4:5], 0.5, v[18:19]
	s_delay_alu instid0(VALU_DEP_4) | instskip(SKIP_1) | instid1(VALU_DEP_3)
	v_mul_f64_e32 v[2:3], 0.5, v[2:3]
	s_wait_loadcnt 0x0
	v_mul_f64_e32 v[16:17], v[6:7], v[23:24]
	s_delay_alu instid0(VALU_DEP_2) | instskip(SKIP_1) | instid1(VALU_DEP_3)
	v_fma_f64 v[18:19], v[4:5], v[23:24], v[2:3]
	v_fma_f64 v[2:3], v[4:5], v[23:24], -v[2:3]
	v_fma_f64 v[25:26], v[0:1], 0.5, v[16:17]
	v_fma_f64 v[0:1], v[0:1], 0.5, -v[16:17]
	s_delay_alu instid0(VALU_DEP_4) | instskip(NEXT) | instid1(VALU_DEP_4)
	v_fma_f64 v[18:19], -v[21:22], v[6:7], v[18:19]
	v_fma_f64 v[2:3], -v[21:22], v[6:7], v[2:3]
	s_delay_alu instid0(VALU_DEP_4) | instskip(NEXT) | instid1(VALU_DEP_4)
	v_fma_f64 v[16:17], v[4:5], v[21:22], v[25:26]
	v_fma_f64 v[0:1], -v[4:5], v[21:22], v[0:1]
                                        ; implicit-def: $vgpr4_vgpr5
.LBB0_25:
	s_wait_alu 0xfffe
	s_and_not1_saveexec_b32 s0, s0
	s_cbranch_execz .LBB0_27
; %bb.26:
	s_wait_dscnt 0x0
	v_add_f64_e32 v[16:17], v[4:5], v[6:7]
	v_add_f64_e64 v[0:1], v[4:5], -v[6:7]
	v_mov_b32_e32 v6, 0
	v_mov_b32_e32 v18, 0
	;; [unrolled: 1-line block ×3, first 2 shown]
	s_delay_alu instid0(VALU_DEP_2)
	v_mov_b32_e32 v2, v18
	ds_load_b64 v[4:5], v6 offset:5048
	v_mov_b32_e32 v3, v19
	s_wait_dscnt 0x0
	v_xor_b32_e32 v5, 0x80000000, v5
	ds_store_b64 v6, v[4:5] offset:5048
.LBB0_27:
	s_wait_alu 0xfffe
	s_or_b32 exec_lo, exec_lo, s0
	s_wait_dscnt 0x0
	s_clause 0x1
	global_load_b128 v[4:7], v[14:15], off offset:10032
	global_load_b128 v[12:15], v[12:13], off offset:10032
	ds_store_2addr_b64 v69, v[16:17], v[18:19] offset1:1
	ds_store_b128 v20, v[0:3] offset:10080
	ds_load_b128 v[0:3], v72
	ds_load_b128 v[16:19], v20 offset:9072
	s_add_nc_u64 s[0:1], s[8:9], 0x2730
	s_wait_dscnt 0x0
	v_add_f64_e64 v[21:22], v[0:1], -v[16:17]
	v_add_f64_e32 v[23:24], v[2:3], v[18:19]
	v_add_f64_e64 v[2:3], v[2:3], -v[18:19]
	v_add_f64_e32 v[0:1], v[0:1], v[16:17]
	s_delay_alu instid0(VALU_DEP_4) | instskip(NEXT) | instid1(VALU_DEP_4)
	v_mul_f64_e32 v[18:19], 0.5, v[21:22]
	v_mul_f64_e32 v[21:22], 0.5, v[23:24]
	s_delay_alu instid0(VALU_DEP_4) | instskip(SKIP_1) | instid1(VALU_DEP_3)
	v_mul_f64_e32 v[2:3], 0.5, v[2:3]
	s_wait_loadcnt 0x1
	v_mul_f64_e32 v[16:17], v[18:19], v[6:7]
	s_delay_alu instid0(VALU_DEP_2) | instskip(SKIP_1) | instid1(VALU_DEP_3)
	v_fma_f64 v[23:24], v[21:22], v[6:7], v[2:3]
	v_fma_f64 v[2:3], v[21:22], v[6:7], -v[2:3]
	v_fma_f64 v[6:7], v[0:1], 0.5, v[16:17]
	v_fma_f64 v[0:1], v[0:1], 0.5, -v[16:17]
	s_delay_alu instid0(VALU_DEP_4) | instskip(NEXT) | instid1(VALU_DEP_4)
	v_fma_f64 v[16:17], -v[4:5], v[18:19], v[23:24]
	v_fma_f64 v[18:19], -v[4:5], v[18:19], v[2:3]
	s_delay_alu instid0(VALU_DEP_4) | instskip(NEXT) | instid1(VALU_DEP_4)
	v_fma_f64 v[6:7], v[21:22], v[4:5], v[6:7]
	v_fma_f64 v[4:5], -v[21:22], v[4:5], v[0:1]
	global_load_b128 v[0:3], v[10:11], off offset:10032
	ds_store_b64 v72, v[16:17] offset:8
	ds_store_b64 v20, v[18:19] offset:9080
	ds_store_b64 v72, v[6:7]
	ds_store_b64 v20, v[4:5] offset:9072
	ds_load_b128 v[4:7], v71
	ds_load_b128 v[16:19], v20 offset:8064
	s_wait_dscnt 0x0
	v_add_f64_e64 v[10:11], v[4:5], -v[16:17]
	v_add_f64_e32 v[21:22], v[6:7], v[18:19]
	v_add_f64_e64 v[6:7], v[6:7], -v[18:19]
	v_add_f64_e32 v[4:5], v[4:5], v[16:17]
	s_delay_alu instid0(VALU_DEP_4) | instskip(NEXT) | instid1(VALU_DEP_4)
	v_mul_f64_e32 v[10:11], 0.5, v[10:11]
	v_mul_f64_e32 v[18:19], 0.5, v[21:22]
	s_delay_alu instid0(VALU_DEP_4) | instskip(SKIP_1) | instid1(VALU_DEP_3)
	v_mul_f64_e32 v[6:7], 0.5, v[6:7]
	s_wait_loadcnt 0x1
	v_mul_f64_e32 v[16:17], v[10:11], v[14:15]
	s_delay_alu instid0(VALU_DEP_2) | instskip(SKIP_1) | instid1(VALU_DEP_3)
	v_fma_f64 v[21:22], v[18:19], v[14:15], v[6:7]
	v_fma_f64 v[6:7], v[18:19], v[14:15], -v[6:7]
	v_fma_f64 v[14:15], v[4:5], 0.5, v[16:17]
	v_fma_f64 v[4:5], v[4:5], 0.5, -v[16:17]
	s_delay_alu instid0(VALU_DEP_4) | instskip(NEXT) | instid1(VALU_DEP_4)
	v_fma_f64 v[16:17], -v[12:13], v[10:11], v[21:22]
	v_fma_f64 v[10:11], -v[12:13], v[10:11], v[6:7]
	s_delay_alu instid0(VALU_DEP_4) | instskip(NEXT) | instid1(VALU_DEP_4)
	v_fma_f64 v[14:15], v[18:19], v[12:13], v[14:15]
	v_fma_f64 v[12:13], -v[18:19], v[12:13], v[4:5]
	s_wait_alu 0xfffe
	v_add_co_u32 v4, s0, s0, v8
	s_wait_alu 0xf1ff
	v_add_co_ci_u32_e64 v5, s0, s1, v9, s0
	global_load_b128 v[4:7], v[4:5], off offset:4032
	ds_store_b64 v71, v[16:17] offset:8
	ds_store_b64 v20, v[10:11] offset:8072
	ds_store_b64 v71, v[14:15]
	ds_store_b64 v20, v[12:13] offset:8064
	ds_load_b128 v[8:11], v70
	ds_load_b128 v[12:15], v20 offset:7056
	s_wait_dscnt 0x0
	v_add_f64_e64 v[16:17], v[8:9], -v[12:13]
	v_add_f64_e32 v[18:19], v[10:11], v[14:15]
	v_add_f64_e64 v[10:11], v[10:11], -v[14:15]
	v_add_f64_e32 v[8:9], v[8:9], v[12:13]
	s_delay_alu instid0(VALU_DEP_4) | instskip(NEXT) | instid1(VALU_DEP_4)
	v_mul_f64_e32 v[14:15], 0.5, v[16:17]
	v_mul_f64_e32 v[16:17], 0.5, v[18:19]
	s_delay_alu instid0(VALU_DEP_4) | instskip(SKIP_1) | instid1(VALU_DEP_3)
	v_mul_f64_e32 v[10:11], 0.5, v[10:11]
	s_wait_loadcnt 0x1
	v_mul_f64_e32 v[12:13], v[14:15], v[2:3]
	s_delay_alu instid0(VALU_DEP_2) | instskip(SKIP_1) | instid1(VALU_DEP_3)
	v_fma_f64 v[18:19], v[16:17], v[2:3], v[10:11]
	v_fma_f64 v[2:3], v[16:17], v[2:3], -v[10:11]
	v_fma_f64 v[10:11], v[8:9], 0.5, v[12:13]
	v_fma_f64 v[8:9], v[8:9], 0.5, -v[12:13]
	s_delay_alu instid0(VALU_DEP_4) | instskip(NEXT) | instid1(VALU_DEP_4)
	v_fma_f64 v[12:13], -v[0:1], v[14:15], v[18:19]
	v_fma_f64 v[2:3], -v[0:1], v[14:15], v[2:3]
	s_delay_alu instid0(VALU_DEP_4) | instskip(NEXT) | instid1(VALU_DEP_4)
	v_fma_f64 v[10:11], v[16:17], v[0:1], v[10:11]
	v_fma_f64 v[0:1], -v[16:17], v[0:1], v[8:9]
	ds_store_2addr_b64 v70, v[10:11], v[12:13] offset1:1
	ds_store_b128 v20, v[0:3] offset:7056
	ds_load_b128 v[0:3], v69 offset:4032
	ds_load_b128 v[8:11], v20 offset:6048
	s_wait_dscnt 0x0
	v_add_f64_e64 v[12:13], v[0:1], -v[8:9]
	v_add_f64_e32 v[14:15], v[2:3], v[10:11]
	v_add_f64_e64 v[2:3], v[2:3], -v[10:11]
	v_add_f64_e32 v[0:1], v[0:1], v[8:9]
	s_delay_alu instid0(VALU_DEP_4) | instskip(NEXT) | instid1(VALU_DEP_4)
	v_mul_f64_e32 v[10:11], 0.5, v[12:13]
	v_mul_f64_e32 v[12:13], 0.5, v[14:15]
	s_delay_alu instid0(VALU_DEP_4) | instskip(SKIP_1) | instid1(VALU_DEP_3)
	v_mul_f64_e32 v[2:3], 0.5, v[2:3]
	s_wait_loadcnt 0x0
	v_mul_f64_e32 v[8:9], v[10:11], v[6:7]
	s_delay_alu instid0(VALU_DEP_2) | instskip(SKIP_1) | instid1(VALU_DEP_3)
	v_fma_f64 v[14:15], v[12:13], v[6:7], v[2:3]
	v_fma_f64 v[2:3], v[12:13], v[6:7], -v[2:3]
	v_fma_f64 v[6:7], v[0:1], 0.5, v[8:9]
	v_fma_f64 v[0:1], v[0:1], 0.5, -v[8:9]
	s_delay_alu instid0(VALU_DEP_4) | instskip(NEXT) | instid1(VALU_DEP_4)
	v_fma_f64 v[8:9], -v[4:5], v[10:11], v[14:15]
	v_fma_f64 v[2:3], -v[4:5], v[10:11], v[2:3]
	s_delay_alu instid0(VALU_DEP_4) | instskip(NEXT) | instid1(VALU_DEP_4)
	v_fma_f64 v[6:7], v[12:13], v[4:5], v[6:7]
	v_fma_f64 v[0:1], -v[12:13], v[4:5], v[0:1]
	v_add_nc_u32_e32 v4, 0x800, v69
	ds_store_2addr_b64 v4, v[6:7], v[8:9] offset0:248 offset1:249
	ds_store_b128 v20, v[0:3] offset:6048
	global_wb scope:SCOPE_SE
	s_wait_dscnt 0x0
	s_barrier_signal -1
	s_barrier_wait -1
	global_inv scope:SCOPE_SE
	s_and_saveexec_b32 s0, vcc_lo
	s_cbranch_execz .LBB0_30
; %bb.28:
	v_mul_lo_u32 v2, s3, v60
	v_mul_lo_u32 v3, s2, v61
	v_mad_co_u64_u32 v[0:1], null, s2, v60, 0
	v_lshl_add_u32 v28, v58, 4, 0
	v_dual_mov_b32 v59, 0 :: v_dual_add_nc_u32 v12, 63, v58
	v_lshlrev_b64_e32 v[10:11], 4, v[56:57]
	v_add_nc_u32_e32 v26, 0x17a, v58
	v_add_nc_u32_e32 v24, 0x13b, v58
	v_add3_u32 v1, v1, v3, v2
	ds_load_b128 v[2:5], v28
	ds_load_b128 v[6:9], v28 offset:1008
	v_mov_b32_e32 v13, v59
	v_lshlrev_b64_e32 v[14:15], 4, v[58:59]
	v_mov_b32_e32 v25, v59
	v_lshlrev_b64_e32 v[0:1], 4, v[0:1]
	v_mov_b32_e32 v27, v59
	s_delay_alu instid0(VALU_DEP_3) | instskip(NEXT) | instid1(VALU_DEP_3)
	v_lshlrev_b64_e32 v[24:25], 4, v[24:25]
	v_add_co_u32 v0, vcc_lo, s6, v0
	s_wait_alu 0xfffd
	s_delay_alu instid0(VALU_DEP_4) | instskip(NEXT) | instid1(VALU_DEP_2)
	v_add_co_ci_u32_e32 v1, vcc_lo, s7, v1, vcc_lo
	v_add_co_u32 v0, vcc_lo, v0, v10
	s_wait_alu 0xfffd
	s_delay_alu instid0(VALU_DEP_2) | instskip(SKIP_1) | instid1(VALU_DEP_3)
	v_add_co_ci_u32_e32 v1, vcc_lo, v1, v11, vcc_lo
	v_lshlrev_b64_e32 v[10:11], 4, v[12:13]
	v_add_co_u32 v12, vcc_lo, v0, v14
	s_wait_alu 0xfffd
	s_delay_alu instid0(VALU_DEP_3) | instskip(SKIP_1) | instid1(VALU_DEP_4)
	v_add_co_ci_u32_e32 v13, vcc_lo, v1, v15, vcc_lo
	v_add_nc_u32_e32 v14, 0x7e, v58
	v_add_co_u32 v10, vcc_lo, v0, v10
	v_mov_b32_e32 v15, v59
	s_wait_alu 0xfffd
	v_add_co_ci_u32_e32 v11, vcc_lo, v1, v11, vcc_lo
	s_wait_dscnt 0x1
	global_store_b128 v[12:13], v[2:5], off
	s_wait_dscnt 0x0
	global_store_b128 v[10:11], v[6:9], off
	v_add_nc_u32_e32 v10, 0xbd, v58
	v_lshlrev_b64_e32 v[2:3], 4, v[14:15]
	v_dual_mov_b32 v11, v59 :: v_dual_add_nc_u32 v12, 0xfc, v58
	v_mov_b32_e32 v13, v59
	s_delay_alu instid0(VALU_DEP_3) | instskip(SKIP_1) | instid1(VALU_DEP_4)
	v_add_co_u32 v18, vcc_lo, v0, v2
	s_wait_alu 0xfffd
	v_add_co_ci_u32_e32 v19, vcc_lo, v1, v3, vcc_lo
	ds_load_b128 v[2:5], v28 offset:2016
	ds_load_b128 v[6:9], v28 offset:3024
	v_lshlrev_b64_e32 v[20:21], 4, v[10:11]
	v_lshlrev_b64_e32 v[22:23], 4, v[12:13]
	ds_load_b128 v[10:13], v28 offset:4032
	ds_load_b128 v[14:17], v28 offset:5040
	v_add_co_u32 v20, vcc_lo, v0, v20
	s_wait_alu 0xfffd
	v_add_co_ci_u32_e32 v21, vcc_lo, v1, v21, vcc_lo
	v_add_co_u32 v22, vcc_lo, v0, v22
	s_wait_alu 0xfffd
	v_add_co_ci_u32_e32 v23, vcc_lo, v1, v23, vcc_lo
	;; [unrolled: 3-line block ×3, first 2 shown]
	s_wait_dscnt 0x3
	global_store_b128 v[18:19], v[2:5], off
	s_wait_dscnt 0x2
	global_store_b128 v[20:21], v[6:9], off
	;; [unrolled: 2-line block ×4, first 2 shown]
	v_add_nc_u32_e32 v10, 0x1b9, v58
	v_lshlrev_b64_e32 v[2:3], 4, v[26:27]
	v_dual_mov_b32 v11, v59 :: v_dual_add_nc_u32 v12, 0x1f8, v58
	v_dual_mov_b32 v13, v59 :: v_dual_add_nc_u32 v24, 0x237, v58
	v_mov_b32_e32 v25, v59
	s_delay_alu instid0(VALU_DEP_4)
	v_add_co_u32 v18, vcc_lo, v0, v2
	s_wait_alu 0xfffd
	v_add_co_ci_u32_e32 v19, vcc_lo, v1, v3, vcc_lo
	ds_load_b128 v[2:5], v28 offset:6048
	ds_load_b128 v[6:9], v28 offset:7056
	v_lshlrev_b64_e32 v[20:21], 4, v[10:11]
	v_lshlrev_b64_e32 v[22:23], 4, v[12:13]
	ds_load_b128 v[10:13], v28 offset:8064
	ds_load_b128 v[14:17], v28 offset:9072
	v_lshlrev_b64_e32 v[24:25], 4, v[24:25]
	v_add_co_u32 v20, vcc_lo, v0, v20
	s_wait_alu 0xfffd
	v_add_co_ci_u32_e32 v21, vcc_lo, v1, v21, vcc_lo
	v_add_co_u32 v22, vcc_lo, v0, v22
	s_wait_alu 0xfffd
	v_add_co_ci_u32_e32 v23, vcc_lo, v1, v23, vcc_lo
	;; [unrolled: 3-line block ×3, first 2 shown]
	v_cmp_eq_u32_e32 vcc_lo, 62, v58
	s_wait_dscnt 0x3
	global_store_b128 v[18:19], v[2:5], off
	s_wait_dscnt 0x2
	global_store_b128 v[20:21], v[6:9], off
	;; [unrolled: 2-line block ×4, first 2 shown]
	s_and_b32 exec_lo, exec_lo, vcc_lo
	s_cbranch_execz .LBB0_30
; %bb.29:
	ds_load_b128 v[2:5], v59 offset:10080
	s_wait_dscnt 0x0
	global_store_b128 v[0:1], v[2:5], off offset:10080
.LBB0_30:
	s_nop 0
	s_sendmsg sendmsg(MSG_DEALLOC_VGPRS)
	s_endpgm
	.section	.rodata,"a",@progbits
	.p2align	6, 0x0
	.amdhsa_kernel fft_rtc_fwd_len630_factors_3_3_5_7_2_wgs_63_tpt_63_halfLds_dp_op_CI_CI_unitstride_sbrr_R2C_dirReg
		.amdhsa_group_segment_fixed_size 0
		.amdhsa_private_segment_fixed_size 0
		.amdhsa_kernarg_size 104
		.amdhsa_user_sgpr_count 2
		.amdhsa_user_sgpr_dispatch_ptr 0
		.amdhsa_user_sgpr_queue_ptr 0
		.amdhsa_user_sgpr_kernarg_segment_ptr 1
		.amdhsa_user_sgpr_dispatch_id 0
		.amdhsa_user_sgpr_private_segment_size 0
		.amdhsa_wavefront_size32 1
		.amdhsa_uses_dynamic_stack 0
		.amdhsa_enable_private_segment 0
		.amdhsa_system_sgpr_workgroup_id_x 1
		.amdhsa_system_sgpr_workgroup_id_y 0
		.amdhsa_system_sgpr_workgroup_id_z 0
		.amdhsa_system_sgpr_workgroup_info 0
		.amdhsa_system_vgpr_workitem_id 0
		.amdhsa_next_free_vgpr 129
		.amdhsa_next_free_sgpr 39
		.amdhsa_reserve_vcc 1
		.amdhsa_float_round_mode_32 0
		.amdhsa_float_round_mode_16_64 0
		.amdhsa_float_denorm_mode_32 3
		.amdhsa_float_denorm_mode_16_64 3
		.amdhsa_fp16_overflow 0
		.amdhsa_workgroup_processor_mode 1
		.amdhsa_memory_ordered 1
		.amdhsa_forward_progress 0
		.amdhsa_round_robin_scheduling 0
		.amdhsa_exception_fp_ieee_invalid_op 0
		.amdhsa_exception_fp_denorm_src 0
		.amdhsa_exception_fp_ieee_div_zero 0
		.amdhsa_exception_fp_ieee_overflow 0
		.amdhsa_exception_fp_ieee_underflow 0
		.amdhsa_exception_fp_ieee_inexact 0
		.amdhsa_exception_int_div_zero 0
	.end_amdhsa_kernel
	.text
.Lfunc_end0:
	.size	fft_rtc_fwd_len630_factors_3_3_5_7_2_wgs_63_tpt_63_halfLds_dp_op_CI_CI_unitstride_sbrr_R2C_dirReg, .Lfunc_end0-fft_rtc_fwd_len630_factors_3_3_5_7_2_wgs_63_tpt_63_halfLds_dp_op_CI_CI_unitstride_sbrr_R2C_dirReg
                                        ; -- End function
	.section	.AMDGPU.csdata,"",@progbits
; Kernel info:
; codeLenInByte = 10176
; NumSgprs: 41
; NumVgprs: 129
; ScratchSize: 0
; MemoryBound: 0
; FloatMode: 240
; IeeeMode: 1
; LDSByteSize: 0 bytes/workgroup (compile time only)
; SGPRBlocks: 5
; VGPRBlocks: 16
; NumSGPRsForWavesPerEU: 41
; NumVGPRsForWavesPerEU: 129
; Occupancy: 10
; WaveLimiterHint : 1
; COMPUTE_PGM_RSRC2:SCRATCH_EN: 0
; COMPUTE_PGM_RSRC2:USER_SGPR: 2
; COMPUTE_PGM_RSRC2:TRAP_HANDLER: 0
; COMPUTE_PGM_RSRC2:TGID_X_EN: 1
; COMPUTE_PGM_RSRC2:TGID_Y_EN: 0
; COMPUTE_PGM_RSRC2:TGID_Z_EN: 0
; COMPUTE_PGM_RSRC2:TIDIG_COMP_CNT: 0
	.text
	.p2alignl 7, 3214868480
	.fill 96, 4, 3214868480
	.type	__hip_cuid_180727defd6f847,@object ; @__hip_cuid_180727defd6f847
	.section	.bss,"aw",@nobits
	.globl	__hip_cuid_180727defd6f847
__hip_cuid_180727defd6f847:
	.byte	0                               ; 0x0
	.size	__hip_cuid_180727defd6f847, 1

	.ident	"AMD clang version 19.0.0git (https://github.com/RadeonOpenCompute/llvm-project roc-6.4.0 25133 c7fe45cf4b819c5991fe208aaa96edf142730f1d)"
	.section	".note.GNU-stack","",@progbits
	.addrsig
	.addrsig_sym __hip_cuid_180727defd6f847
	.amdgpu_metadata
---
amdhsa.kernels:
  - .args:
      - .actual_access:  read_only
        .address_space:  global
        .offset:         0
        .size:           8
        .value_kind:     global_buffer
      - .offset:         8
        .size:           8
        .value_kind:     by_value
      - .actual_access:  read_only
        .address_space:  global
        .offset:         16
        .size:           8
        .value_kind:     global_buffer
      - .actual_access:  read_only
        .address_space:  global
        .offset:         24
        .size:           8
        .value_kind:     global_buffer
      - .actual_access:  read_only
        .address_space:  global
        .offset:         32
        .size:           8
        .value_kind:     global_buffer
      - .offset:         40
        .size:           8
        .value_kind:     by_value
      - .actual_access:  read_only
        .address_space:  global
        .offset:         48
        .size:           8
        .value_kind:     global_buffer
      - .actual_access:  read_only
        .address_space:  global
        .offset:         56
        .size:           8
        .value_kind:     global_buffer
      - .offset:         64
        .size:           4
        .value_kind:     by_value
      - .actual_access:  read_only
        .address_space:  global
        .offset:         72
        .size:           8
        .value_kind:     global_buffer
      - .actual_access:  read_only
        .address_space:  global
        .offset:         80
        .size:           8
        .value_kind:     global_buffer
      - .actual_access:  read_only
        .address_space:  global
        .offset:         88
        .size:           8
        .value_kind:     global_buffer
      - .actual_access:  write_only
        .address_space:  global
        .offset:         96
        .size:           8
        .value_kind:     global_buffer
    .group_segment_fixed_size: 0
    .kernarg_segment_align: 8
    .kernarg_segment_size: 104
    .language:       OpenCL C
    .language_version:
      - 2
      - 0
    .max_flat_workgroup_size: 63
    .name:           fft_rtc_fwd_len630_factors_3_3_5_7_2_wgs_63_tpt_63_halfLds_dp_op_CI_CI_unitstride_sbrr_R2C_dirReg
    .private_segment_fixed_size: 0
    .sgpr_count:     41
    .sgpr_spill_count: 0
    .symbol:         fft_rtc_fwd_len630_factors_3_3_5_7_2_wgs_63_tpt_63_halfLds_dp_op_CI_CI_unitstride_sbrr_R2C_dirReg.kd
    .uniform_work_group_size: 1
    .uses_dynamic_stack: false
    .vgpr_count:     129
    .vgpr_spill_count: 0
    .wavefront_size: 32
    .workgroup_processor_mode: 1
amdhsa.target:   amdgcn-amd-amdhsa--gfx1201
amdhsa.version:
  - 1
  - 2
...

	.end_amdgpu_metadata
